;; amdgpu-corpus repo=zjin-lcf/HeCBench kind=compiled arch=gfx950 opt=O3
	.amdgcn_target "amdgcn-amd-amdhsa--gfx950"
	.amdhsa_code_object_version 6
	.text
	.protected	_Z15SumWithinBlocksiPKfPf ; -- Begin function _Z15SumWithinBlocksiPKfPf
	.globl	_Z15SumWithinBlocksiPKfPf
	.p2align	8
	.type	_Z15SumWithinBlocksiPKfPf,@function
_Z15SumWithinBlocksiPKfPf:              ; @_Z15SumWithinBlocksiPKfPf
; %bb.0:
	s_load_dword s3, s[0:1], 0x24
	s_load_dword s12, s[0:1], 0x0
	s_load_dwordx4 s[4:7], s[0:1], 0x8
	s_add_u32 s8, s0, 24
	s_addc_u32 s9, s1, 0
	s_waitcnt lgkmcnt(0)
	s_and_b32 s3, s3, 0xffff
	s_mul_i32 s0, s2, s3
	v_add_u32_e32 v2, s0, v0
	v_cmp_gt_i32_e32 vcc, s12, v2
	v_mov_b32_e32 v3, 0
	s_and_saveexec_b64 s[0:1], vcc
	s_cbranch_execz .LBB0_4
; %bb.1:
	s_load_dword s8, s[8:9], 0x0
	v_mov_b32_e32 v4, s4
	v_mov_b32_e32 v5, s5
	v_ashrrev_i32_e32 v3, 31, v2
	v_lshl_add_u64 v[4:5], v[2:3], 2, v[4:5]
	s_waitcnt lgkmcnt(0)
	s_mul_i32 s4, s8, s3
	s_ashr_i32 s5, s4, 31
	s_lshl_b64 s[8:9], s[4:5], 2
	v_mov_b32_e32 v3, 0
	s_mov_b64 s[10:11], 0
.LBB0_2:                                ; =>This Inner Loop Header: Depth=1
	global_load_dword v1, v[4:5], off
	v_add_u32_e32 v2, s4, v2
	v_cmp_le_i32_e32 vcc, s12, v2
	v_lshl_add_u64 v[4:5], v[4:5], 0, s[8:9]
	s_or_b64 s[10:11], vcc, s[10:11]
	s_waitcnt vmcnt(0)
	v_add_f32_e32 v3, v3, v1
	s_andn2_b64 exec, exec, s[10:11]
	s_cbranch_execnz .LBB0_2
; %bb.3:
	s_or_b64 exec, exec, s[10:11]
.LBB0_4:
	s_or_b64 exec, exec, s[0:1]
	s_movk_i32 s0, 0x80
	v_or_b32_e32 v2, 0x80, v0
	v_cmp_gt_u32_e32 vcc, s0, v0
	v_cmp_gt_u32_e64 s[0:1], s3, v2
	v_lshlrev_b32_e32 v1, 2, v0
	s_and_b64 s[4:5], vcc, s[0:1]
	ds_write_b32 v1, v3
	s_waitcnt lgkmcnt(0)
	s_barrier
	s_and_saveexec_b64 s[0:1], s[4:5]
	s_cbranch_execz .LBB0_6
; %bb.5:
	ds_read2st64_b32 v[2:3], v1 offset1:2
	s_waitcnt lgkmcnt(0)
	v_add_f32_e32 v2, v3, v2
	ds_write_b32 v1, v2
.LBB0_6:
	s_or_b64 exec, exec, s[0:1]
	v_or_b32_e32 v2, 64, v0
	v_cmp_gt_u32_e32 vcc, 64, v0
	v_cmp_gt_u32_e64 s[0:1], s3, v2
	s_and_b64 s[4:5], vcc, s[0:1]
	s_waitcnt lgkmcnt(0)
	s_barrier
	s_and_saveexec_b64 s[0:1], s[4:5]
	s_cbranch_execz .LBB0_8
; %bb.7:
	ds_read2st64_b32 v[2:3], v1 offset1:1
	s_waitcnt lgkmcnt(0)
	v_add_f32_e32 v2, v3, v2
	ds_write_b32 v1, v2
.LBB0_8:
	s_or_b64 exec, exec, s[0:1]
	v_or_b32_e32 v2, 32, v0
	v_cmp_gt_u32_e32 vcc, 32, v0
	v_cmp_gt_u32_e64 s[0:1], s3, v2
	s_and_b64 s[4:5], vcc, s[0:1]
	s_waitcnt lgkmcnt(0)
	s_barrier
	s_and_saveexec_b64 s[0:1], s[4:5]
	s_cbranch_execz .LBB0_10
; %bb.9:
	ds_read2_b32 v[2:3], v1 offset1:32
	s_waitcnt lgkmcnt(0)
	v_add_f32_e32 v2, v3, v2
	ds_write_b32 v1, v2
.LBB0_10:
	s_or_b64 exec, exec, s[0:1]
	v_or_b32_e32 v2, 16, v0
	v_cmp_gt_u32_e32 vcc, 16, v0
	v_cmp_gt_u32_e64 s[0:1], s3, v2
	s_and_b64 s[4:5], vcc, s[0:1]
	s_waitcnt lgkmcnt(0)
	s_barrier
	s_and_saveexec_b64 s[0:1], s[4:5]
	s_cbranch_execz .LBB0_12
; %bb.11:
	ds_read2_b32 v[2:3], v1 offset1:16
	s_waitcnt lgkmcnt(0)
	v_add_f32_e32 v2, v3, v2
	ds_write_b32 v1, v2
.LBB0_12:
	s_or_b64 exec, exec, s[0:1]
	v_or_b32_e32 v2, 8, v0
	v_cmp_gt_u32_e32 vcc, 8, v0
	v_cmp_gt_u32_e64 s[0:1], s3, v2
	s_and_b64 s[4:5], vcc, s[0:1]
	s_waitcnt lgkmcnt(0)
	s_barrier
	s_and_saveexec_b64 s[0:1], s[4:5]
	s_cbranch_execz .LBB0_14
; %bb.13:
	ds_read2_b32 v[2:3], v1 offset1:8
	s_waitcnt lgkmcnt(0)
	v_add_f32_e32 v2, v3, v2
	ds_write_b32 v1, v2
.LBB0_14:
	s_or_b64 exec, exec, s[0:1]
	v_or_b32_e32 v2, 4, v0
	v_cmp_gt_u32_e32 vcc, 4, v0
	v_cmp_gt_u32_e64 s[0:1], s3, v2
	s_and_b64 s[4:5], vcc, s[0:1]
	s_waitcnt lgkmcnt(0)
	s_barrier
	s_and_saveexec_b64 s[0:1], s[4:5]
	s_cbranch_execz .LBB0_16
; %bb.15:
	ds_read2_b32 v[2:3], v1 offset1:4
	s_waitcnt lgkmcnt(0)
	v_add_f32_e32 v2, v3, v2
	ds_write_b32 v1, v2
.LBB0_16:
	s_or_b64 exec, exec, s[0:1]
	v_or_b32_e32 v2, 2, v0
	v_cmp_gt_u32_e32 vcc, 2, v0
	v_cmp_gt_u32_e64 s[0:1], s3, v2
	s_and_b64 s[4:5], vcc, s[0:1]
	s_waitcnt lgkmcnt(0)
	s_barrier
	s_and_saveexec_b64 s[0:1], s[4:5]
	s_cbranch_execz .LBB0_18
; %bb.17:
	ds_read2_b32 v[2:3], v1 offset1:2
	s_waitcnt lgkmcnt(0)
	v_add_f32_e32 v2, v3, v2
	ds_write_b32 v1, v2
.LBB0_18:
	s_or_b64 exec, exec, s[0:1]
	s_cmp_gt_u32 s3, 1
	v_cmp_eq_u32_e32 vcc, 0, v0
	s_cselect_b64 s[0:1], -1, 0
	s_and_b64 s[4:5], vcc, s[0:1]
	s_waitcnt lgkmcnt(0)
	s_barrier
	s_and_saveexec_b64 s[0:1], s[4:5]
	s_cbranch_execz .LBB0_20
; %bb.19:
	v_mov_b32_e32 v0, 0
	ds_read_b32 v0, v0 offset:4
	ds_read_b32 v2, v1
	s_waitcnt lgkmcnt(0)
	v_add_f32_e32 v0, v0, v2
	ds_write_b32 v1, v0
.LBB0_20:
	s_or_b64 exec, exec, s[0:1]
	s_waitcnt lgkmcnt(0)
	s_barrier
	s_and_saveexec_b64 s[0:1], vcc
	s_cbranch_execz .LBB0_22
; %bb.21:
	v_mov_b32_e32 v0, 0
	ds_read_b32 v1, v0
	s_mov_b32 s3, 0
	s_lshl_b64 s[0:1], s[2:3], 2
	s_add_u32 s0, s6, s0
	s_addc_u32 s1, s7, s1
	s_waitcnt lgkmcnt(0)
	global_store_dword v0, v1, s[0:1]
.LBB0_22:
	s_endpgm
	.section	.rodata,"a",@progbits
	.p2align	6, 0x0
	.amdhsa_kernel _Z15SumWithinBlocksiPKfPf
		.amdhsa_group_segment_fixed_size 2048
		.amdhsa_private_segment_fixed_size 0
		.amdhsa_kernarg_size 280
		.amdhsa_user_sgpr_count 2
		.amdhsa_user_sgpr_dispatch_ptr 0
		.amdhsa_user_sgpr_queue_ptr 0
		.amdhsa_user_sgpr_kernarg_segment_ptr 1
		.amdhsa_user_sgpr_dispatch_id 0
		.amdhsa_user_sgpr_kernarg_preload_length 0
		.amdhsa_user_sgpr_kernarg_preload_offset 0
		.amdhsa_user_sgpr_private_segment_size 0
		.amdhsa_uses_dynamic_stack 0
		.amdhsa_enable_private_segment 0
		.amdhsa_system_sgpr_workgroup_id_x 1
		.amdhsa_system_sgpr_workgroup_id_y 0
		.amdhsa_system_sgpr_workgroup_id_z 0
		.amdhsa_system_sgpr_workgroup_info 0
		.amdhsa_system_vgpr_workitem_id 0
		.amdhsa_next_free_vgpr 6
		.amdhsa_next_free_sgpr 13
		.amdhsa_accum_offset 8
		.amdhsa_reserve_vcc 1
		.amdhsa_float_round_mode_32 0
		.amdhsa_float_round_mode_16_64 0
		.amdhsa_float_denorm_mode_32 3
		.amdhsa_float_denorm_mode_16_64 3
		.amdhsa_dx10_clamp 1
		.amdhsa_ieee_mode 1
		.amdhsa_fp16_overflow 0
		.amdhsa_tg_split 0
		.amdhsa_exception_fp_ieee_invalid_op 0
		.amdhsa_exception_fp_denorm_src 0
		.amdhsa_exception_fp_ieee_div_zero 0
		.amdhsa_exception_fp_ieee_overflow 0
		.amdhsa_exception_fp_ieee_underflow 0
		.amdhsa_exception_fp_ieee_inexact 0
		.amdhsa_exception_int_div_zero 0
	.end_amdhsa_kernel
	.text
.Lfunc_end0:
	.size	_Z15SumWithinBlocksiPKfPf, .Lfunc_end0-_Z15SumWithinBlocksiPKfPf
                                        ; -- End function
	.set _Z15SumWithinBlocksiPKfPf.num_vgpr, 6
	.set _Z15SumWithinBlocksiPKfPf.num_agpr, 0
	.set _Z15SumWithinBlocksiPKfPf.numbered_sgpr, 13
	.set _Z15SumWithinBlocksiPKfPf.num_named_barrier, 0
	.set _Z15SumWithinBlocksiPKfPf.private_seg_size, 0
	.set _Z15SumWithinBlocksiPKfPf.uses_vcc, 1
	.set _Z15SumWithinBlocksiPKfPf.uses_flat_scratch, 0
	.set _Z15SumWithinBlocksiPKfPf.has_dyn_sized_stack, 0
	.set _Z15SumWithinBlocksiPKfPf.has_recursion, 0
	.set _Z15SumWithinBlocksiPKfPf.has_indirect_call, 0
	.section	.AMDGPU.csdata,"",@progbits
; Kernel info:
; codeLenInByte = 772
; TotalNumSgprs: 19
; NumVgprs: 6
; NumAgprs: 0
; TotalNumVgprs: 6
; ScratchSize: 0
; MemoryBound: 0
; FloatMode: 240
; IeeeMode: 1
; LDSByteSize: 2048 bytes/workgroup (compile time only)
; SGPRBlocks: 2
; VGPRBlocks: 0
; NumSGPRsForWavesPerEU: 19
; NumVGPRsForWavesPerEU: 6
; AccumOffset: 8
; Occupancy: 8
; WaveLimiterHint : 0
; COMPUTE_PGM_RSRC2:SCRATCH_EN: 0
; COMPUTE_PGM_RSRC2:USER_SGPR: 2
; COMPUTE_PGM_RSRC2:TRAP_HANDLER: 0
; COMPUTE_PGM_RSRC2:TGID_X_EN: 1
; COMPUTE_PGM_RSRC2:TGID_Y_EN: 0
; COMPUTE_PGM_RSRC2:TGID_Z_EN: 0
; COMPUTE_PGM_RSRC2:TIDIG_COMP_CNT: 0
; COMPUTE_PGM_RSRC3_GFX90A:ACCUM_OFFSET: 1
; COMPUTE_PGM_RSRC3_GFX90A:TG_SPLIT: 0
	.text
	.protected	_Z7initranjPj           ; -- Begin function _Z7initranjPj
	.globl	_Z7initranjPj
	.p2align	8
	.type	_Z7initranjPj,@function
_Z7initranjPj:                          ; @_Z7initranjPj
; %bb.0:
	s_load_dword s3, s[0:1], 0x1c
	s_load_dword s6, s[0:1], 0x0
	s_load_dwordx2 s[4:5], s[0:1], 0x8
	s_waitcnt lgkmcnt(0)
	s_and_b32 s0, s3, 0xffff
	s_mul_i32 s2, s2, s0
	v_add_u32_e32 v0, s2, v0
	v_xor_b32_e32 v2, s6, v0
	s_mov_b32 s0, 0x1984a2d
	v_ashrrev_i32_e32 v1, 31, v0
	v_mad_u64_u32 v[2:3], s[0:1], v2, s0, 1
	v_lshl_add_u64 v[0:1], v[0:1], 2, s[4:5]
	v_and_b32_e32 v2, 0x7fffffff, v2
	global_store_dword v[0:1], v2, off
	s_endpgm
	.section	.rodata,"a",@progbits
	.p2align	6, 0x0
	.amdhsa_kernel _Z7initranjPj
		.amdhsa_group_segment_fixed_size 0
		.amdhsa_private_segment_fixed_size 0
		.amdhsa_kernarg_size 272
		.amdhsa_user_sgpr_count 2
		.amdhsa_user_sgpr_dispatch_ptr 0
		.amdhsa_user_sgpr_queue_ptr 0
		.amdhsa_user_sgpr_kernarg_segment_ptr 1
		.amdhsa_user_sgpr_dispatch_id 0
		.amdhsa_user_sgpr_kernarg_preload_length 0
		.amdhsa_user_sgpr_kernarg_preload_offset 0
		.amdhsa_user_sgpr_private_segment_size 0
		.amdhsa_uses_dynamic_stack 0
		.amdhsa_enable_private_segment 0
		.amdhsa_system_sgpr_workgroup_id_x 1
		.amdhsa_system_sgpr_workgroup_id_y 0
		.amdhsa_system_sgpr_workgroup_id_z 0
		.amdhsa_system_sgpr_workgroup_info 0
		.amdhsa_system_vgpr_workitem_id 0
		.amdhsa_next_free_vgpr 4
		.amdhsa_next_free_sgpr 7
		.amdhsa_accum_offset 4
		.amdhsa_reserve_vcc 0
		.amdhsa_float_round_mode_32 0
		.amdhsa_float_round_mode_16_64 0
		.amdhsa_float_denorm_mode_32 3
		.amdhsa_float_denorm_mode_16_64 3
		.amdhsa_dx10_clamp 1
		.amdhsa_ieee_mode 1
		.amdhsa_fp16_overflow 0
		.amdhsa_tg_split 0
		.amdhsa_exception_fp_ieee_invalid_op 0
		.amdhsa_exception_fp_denorm_src 0
		.amdhsa_exception_fp_ieee_div_zero 0
		.amdhsa_exception_fp_ieee_overflow 0
		.amdhsa_exception_fp_ieee_underflow 0
		.amdhsa_exception_fp_ieee_inexact 0
		.amdhsa_exception_int_div_zero 0
	.end_amdhsa_kernel
	.text
.Lfunc_end1:
	.size	_Z7initranjPj, .Lfunc_end1-_Z7initranjPj
                                        ; -- End function
	.set _Z7initranjPj.num_vgpr, 4
	.set _Z7initranjPj.num_agpr, 0
	.set _Z7initranjPj.numbered_sgpr, 7
	.set _Z7initranjPj.num_named_barrier, 0
	.set _Z7initranjPj.private_seg_size, 0
	.set _Z7initranjPj.uses_vcc, 0
	.set _Z7initranjPj.uses_flat_scratch, 0
	.set _Z7initranjPj.has_dyn_sized_stack, 0
	.set _Z7initranjPj.has_recursion, 0
	.set _Z7initranjPj.has_indirect_call, 0
	.section	.AMDGPU.csdata,"",@progbits
; Kernel info:
; codeLenInByte = 96
; TotalNumSgprs: 13
; NumVgprs: 4
; NumAgprs: 0
; TotalNumVgprs: 4
; ScratchSize: 0
; MemoryBound: 0
; FloatMode: 240
; IeeeMode: 1
; LDSByteSize: 0 bytes/workgroup (compile time only)
; SGPRBlocks: 1
; VGPRBlocks: 0
; NumSGPRsForWavesPerEU: 13
; NumVGPRsForWavesPerEU: 4
; AccumOffset: 4
; Occupancy: 8
; WaveLimiterHint : 0
; COMPUTE_PGM_RSRC2:SCRATCH_EN: 0
; COMPUTE_PGM_RSRC2:USER_SGPR: 2
; COMPUTE_PGM_RSRC2:TRAP_HANDLER: 0
; COMPUTE_PGM_RSRC2:TGID_X_EN: 1
; COMPUTE_PGM_RSRC2:TGID_Y_EN: 0
; COMPUTE_PGM_RSRC2:TGID_Z_EN: 0
; COMPUTE_PGM_RSRC2:TIDIG_COMP_CNT: 0
; COMPUTE_PGM_RSRC3_GFX90A:ACCUM_OFFSET: 0
; COMPUTE_PGM_RSRC3_GFX90A:TG_SPLIT: 0
	.text
	.protected	_Z10zero_statsiPf       ; -- Begin function _Z10zero_statsiPf
	.globl	_Z10zero_statsiPf
	.p2align	8
	.type	_Z10zero_statsiPf,@function
_Z10zero_statsiPf:                      ; @_Z10zero_statsiPf
; %bb.0:
	s_load_dword s4, s[0:1], 0x0
	s_load_dword s3, s[0:1], 0x1c
	s_load_dwordx2 s[6:7], s[0:1], 0x8
	v_mov_b32_e32 v4, 0
	s_waitcnt lgkmcnt(0)
	s_ashr_i32 s5, s4, 31
	s_and_b32 s0, s3, 0xffff
	s_mul_i32 s2, s2, s0
	v_add_u32_e32 v0, s2, v0
	v_ashrrev_i32_e32 v1, 31, v0
	s_add_i32 s0, s4, s4
	v_lshl_add_u64 v[2:3], v[0:1], 2, s[6:7]
	v_add_u32_e32 v0, s0, v0
	global_store_dword v[2:3], v4, off
	v_lshl_add_u64 v[2:3], s[4:5], 2, v[2:3]
	v_ashrrev_i32_e32 v1, 31, v0
	global_store_dword v[2:3], v4, off
	v_lshl_add_u64 v[2:3], v[0:1], 2, s[6:7]
	v_add_u32_e32 v0, s4, v0
	v_ashrrev_i32_e32 v1, 31, v0
	v_lshl_add_u64 v[0:1], v[0:1], 2, s[6:7]
	global_store_dword v[2:3], v4, off
	global_store_dword v[0:1], v4, off
	s_endpgm
	.section	.rodata,"a",@progbits
	.p2align	6, 0x0
	.amdhsa_kernel _Z10zero_statsiPf
		.amdhsa_group_segment_fixed_size 0
		.amdhsa_private_segment_fixed_size 0
		.amdhsa_kernarg_size 272
		.amdhsa_user_sgpr_count 2
		.amdhsa_user_sgpr_dispatch_ptr 0
		.amdhsa_user_sgpr_queue_ptr 0
		.amdhsa_user_sgpr_kernarg_segment_ptr 1
		.amdhsa_user_sgpr_dispatch_id 0
		.amdhsa_user_sgpr_kernarg_preload_length 0
		.amdhsa_user_sgpr_kernarg_preload_offset 0
		.amdhsa_user_sgpr_private_segment_size 0
		.amdhsa_uses_dynamic_stack 0
		.amdhsa_enable_private_segment 0
		.amdhsa_system_sgpr_workgroup_id_x 1
		.amdhsa_system_sgpr_workgroup_id_y 0
		.amdhsa_system_sgpr_workgroup_id_z 0
		.amdhsa_system_sgpr_workgroup_info 0
		.amdhsa_system_vgpr_workitem_id 0
		.amdhsa_next_free_vgpr 5
		.amdhsa_next_free_sgpr 8
		.amdhsa_accum_offset 8
		.amdhsa_reserve_vcc 0
		.amdhsa_float_round_mode_32 0
		.amdhsa_float_round_mode_16_64 0
		.amdhsa_float_denorm_mode_32 3
		.amdhsa_float_denorm_mode_16_64 3
		.amdhsa_dx10_clamp 1
		.amdhsa_ieee_mode 1
		.amdhsa_fp16_overflow 0
		.amdhsa_tg_split 0
		.amdhsa_exception_fp_ieee_invalid_op 0
		.amdhsa_exception_fp_denorm_src 0
		.amdhsa_exception_fp_ieee_div_zero 0
		.amdhsa_exception_fp_ieee_overflow 0
		.amdhsa_exception_fp_ieee_underflow 0
		.amdhsa_exception_fp_ieee_inexact 0
		.amdhsa_exception_int_div_zero 0
	.end_amdhsa_kernel
	.text
.Lfunc_end2:
	.size	_Z10zero_statsiPf, .Lfunc_end2-_Z10zero_statsiPf
                                        ; -- End function
	.set _Z10zero_statsiPf.num_vgpr, 5
	.set _Z10zero_statsiPf.num_agpr, 0
	.set _Z10zero_statsiPf.numbered_sgpr, 8
	.set _Z10zero_statsiPf.num_named_barrier, 0
	.set _Z10zero_statsiPf.private_seg_size, 0
	.set _Z10zero_statsiPf.uses_vcc, 0
	.set _Z10zero_statsiPf.uses_flat_scratch, 0
	.set _Z10zero_statsiPf.has_dyn_sized_stack, 0
	.set _Z10zero_statsiPf.has_recursion, 0
	.set _Z10zero_statsiPf.has_indirect_call, 0
	.section	.AMDGPU.csdata,"",@progbits
; Kernel info:
; codeLenInByte = 144
; TotalNumSgprs: 14
; NumVgprs: 5
; NumAgprs: 0
; TotalNumVgprs: 5
; ScratchSize: 0
; MemoryBound: 0
; FloatMode: 240
; IeeeMode: 1
; LDSByteSize: 0 bytes/workgroup (compile time only)
; SGPRBlocks: 1
; VGPRBlocks: 0
; NumSGPRsForWavesPerEU: 14
; NumVGPRsForWavesPerEU: 5
; AccumOffset: 8
; Occupancy: 8
; WaveLimiterHint : 0
; COMPUTE_PGM_RSRC2:SCRATCH_EN: 0
; COMPUTE_PGM_RSRC2:USER_SGPR: 2
; COMPUTE_PGM_RSRC2:TRAP_HANDLER: 0
; COMPUTE_PGM_RSRC2:TGID_X_EN: 1
; COMPUTE_PGM_RSRC2:TGID_Y_EN: 0
; COMPUTE_PGM_RSRC2:TGID_Z_EN: 0
; COMPUTE_PGM_RSRC2:TIDIG_COMP_CNT: 0
; COMPUTE_PGM_RSRC3_GFX90A:ACCUM_OFFSET: 1
; COMPUTE_PGM_RSRC3_GFX90A:TG_SPLIT: 0
	.text
	.protected	_Z10initializePfS_S_S_S_S_S_Pj ; -- Begin function _Z10initializePfS_S_S_S_S_S_Pj
	.globl	_Z10initializePfS_S_S_S_S_S_Pj
	.p2align	8
	.type	_Z10initializePfS_S_S_S_S_S_Pj,@function
_Z10initializePfS_S_S_S_S_S_Pj:         ; @_Z10initializePfS_S_S_S_S_S_Pj
; %bb.0:
	s_load_dword s3, s[0:1], 0x4c
	s_load_dwordx8 s[4:11], s[0:1], 0x20
	s_load_dwordx8 s[12:19], s[0:1], 0x0
	s_mov_b32 s21, 0x309c3efd
	s_mov_b32 s20, 0x6dc9da11
	s_waitcnt lgkmcnt(0)
	s_and_b32 s3, s3, 0xffff
	s_mul_i32 s2, s2, s3
	v_add_u32_e32 v0, s2, v0
	v_ashrrev_i32_e32 v1, 31, v0
	v_lshlrev_b64 v[0:1], 2, v[0:1]
	v_lshl_add_u64 v[2:3], s[10:11], 0, v[0:1]
	global_load_dword v18, v[2:3], off
	s_mov_b32 s3, 0x1984a2d
	s_mov_b32 s10, 0x84ee0be9
	;; [unrolled: 1-line block ×4, first 2 shown]
	s_brev_b32 s2, 12
	v_lshl_add_u64 v[4:5], s[12:13], 0, v[0:1]
	v_lshl_add_u64 v[6:7], s[14:15], 0, v[0:1]
	;; [unrolled: 1-line block ×6, first 2 shown]
	s_mov_b32 s23, 0xf800000
	v_mov_b32_e32 v22, 0x260
	v_lshl_add_u64 v[0:1], s[8:9], 0, v[0:1]
	s_waitcnt vmcnt(0)
	v_mad_u64_u32 v[16:17], s[0:1], v18, s3, 1
	v_mul_lo_u32 v17, v18, s10
	v_mul_lo_u32 v19, v18, s11
	;; [unrolled: 1-line block ×5, first 2 shown]
	v_add_u32_e32 v17, 0x1984a2e, v17
	v_add_u32_e32 v19, 0x86865617, v19
	;; [unrolled: 1-line block ×3, first 2 shown]
	v_and_b32_e32 v16, 0x7fffffff, v16
	v_add_u32_e32 v20, 0xaf27c80c, v20
	v_add_u32_e32 v18, 0x4d8de11a, v18
	v_and_b32_e32 v19, 0x7fffffff, v19
	v_and_b32_e32 v21, 0x7fffffff, v21
	;; [unrolled: 1-line block ×3, first 2 shown]
	v_cvt_f32_u32_e32 v16, v16
	v_and_b32_e32 v24, 0x7fffffff, v18
	v_and_b32_e32 v20, 0x7fffffff, v20
	v_cvt_f32_u32_e32 v17, v19
	v_cvt_f32_u32_e32 v19, v21
	;; [unrolled: 1-line block ×5, first 2 shown]
	global_store_dword v[2:3], v24, off
	v_pk_fma_f32 v[2:3], v[16:17], s[2:3], -0.5 op_sel_hi:[1,0,0]
	v_pk_fma_f32 v[16:17], v[18:19], s[2:3], -0.5 op_sel_hi:[1,0,0]
	;; [unrolled: 1-line block ×3, first 2 shown]
	v_pk_mul_f32 v[20:21], v[2:3], 4.0 op_sel_hi:[1,0]
	v_pk_mul_f32 v[16:17], v[16:17], 4.0 op_sel_hi:[1,0]
	;; [unrolled: 1-line block ×3, first 2 shown]
	global_store_dword v[4:5], v20, off
	global_store_dword v[6:7], v16, off
	;; [unrolled: 1-line block ×6, first 2 shown]
	v_pk_mul_f32 v[4:5], v[16:17], v[16:17]
	v_pk_mul_f32 v[6:7], v[20:21], v[20:21]
	;; [unrolled: 1-line block ×3, first 2 shown]
	v_pk_fma_f32 v[2:3], v[2:3], 4.0, v[18:19] op_sel_hi:[1,0,1] neg_lo:[0,0,1] neg_hi:[0,0,1]
	v_add_f32_e32 v4, v6, v4
	v_sub_f32_e32 v10, v16, v17
	v_add_f32_e32 v5, v8, v5
	v_pk_mul_f32 v[2:3], v[2:3], v[2:3]
	v_add_f32_e32 v4, v4, v7
	v_add_f32_e32 v5, v5, v9
	v_fma_f32 v2, v10, v10, v2
	v_mul_f32_e32 v6, 0x4f800000, v4
	v_cmp_gt_f32_e32 vcc, s23, v4
	v_mul_f32_e32 v7, 0x4f800000, v5
	v_add_f32_e32 v2, v2, v3
	v_cndmask_b32_e32 v3, v4, v6, vcc
	v_cmp_gt_f32_e64 s[0:1], s23, v5
	v_sqrt_f32_e32 v6, v3
	v_cmp_gt_f32_e64 s[2:3], s23, v2
	v_cndmask_b32_e64 v4, v5, v7, s[0:1]
	v_sqrt_f32_e32 v7, v4
	v_mul_f32_e32 v5, 0x4f800000, v2
	v_add_u32_e32 v8, -1, v6
	v_cndmask_b32_e64 v2, v2, v5, s[2:3]
	v_add_u32_e32 v10, -1, v7
	v_fma_f32 v12, -v8, v6, v3
	v_sqrt_f32_e32 v5, v2
	v_add_u32_e32 v9, 1, v6
	v_fma_f32 v14, -v10, v7, v4
	v_cmp_ge_f32_e64 s[4:5], 0, v12
	v_add_u32_e32 v11, 1, v7
	v_fma_f32 v13, -v9, v6, v3
	v_cndmask_b32_e64 v6, v6, v8, s[4:5]
	v_cmp_ge_f32_e64 s[4:5], 0, v14
	v_fma_f32 v15, -v11, v7, v4
	v_add_u32_e32 v16, -1, v5
	v_cndmask_b32_e64 v7, v7, v10, s[4:5]
	v_cmp_lt_f32_e64 s[4:5], 0, v13
	v_fma_f32 v8, -v16, v5, v2
	s_nop 0
	v_cndmask_b32_e64 v6, v6, v9, s[4:5]
	v_cmp_lt_f32_e64 s[4:5], 0, v15
	v_mul_f32_e32 v9, 0x37800000, v6
	v_cndmask_b32_e32 v6, v6, v9, vcc
	v_cndmask_b32_e64 v7, v7, v11, s[4:5]
	v_mul_f32_e32 v10, 0x37800000, v7
	v_cmp_class_f32_e32 vcc, v3, v22
	v_cmp_ge_f32_e64 s[4:5], 0, v8
	v_cndmask_b32_e64 v7, v7, v10, s[0:1]
	v_cndmask_b32_e32 v3, v6, v3, vcc
	v_cmp_class_f32_e32 vcc, v4, v22
	v_add_u32_e32 v6, 1, v5
	v_cndmask_b32_e64 v8, v5, v16, s[4:5]
	v_cndmask_b32_e32 v4, v7, v4, vcc
	v_fma_f32 v5, -v6, v5, v2
	v_cmp_lt_f32_e32 vcc, 0, v5
	v_add_f32_e32 v3, v3, v4
	v_mul_f32_e32 v3, -2.0, v3
	v_cndmask_b32_e32 v5, v8, v6, vcc
	v_mul_f32_e32 v6, 0x37800000, v5
	s_mov_b32 s0, 0x3fb8aa3b
	v_mul_f32_e32 v4, 0x3fb8aa3b, v3
	v_cndmask_b32_e64 v5, v5, v6, s[2:3]
	v_fma_f32 v6, v3, s0, -v4
	v_rndne_f32_e32 v7, v4
	v_fmamk_f32 v6, v3, 0x32a5705f, v6
	v_sub_f32_e32 v4, v4, v7
	v_add_f32_e32 v4, v4, v6
	v_exp_f32_e32 v4, v4
	v_cvt_i32_f32_e32 v6, v7
	v_cmp_class_f32_e32 vcc, v2, v22
	s_mov_b32 s0, 0xc2ce8ed0
	v_ldexp_f32 v4, v4, v6
	v_cndmask_b32_e32 v2, v5, v2, vcc
	v_cmp_ngt_f32_e32 vcc, s0, v3
	s_mov_b32 s0, 0x42b17218
	v_mov_b32_e32 v5, 0x7f800000
	v_cndmask_b32_e32 v4, 0, v4, vcc
	v_cmp_nlt_f32_e32 vcc, s0, v3
	v_fma_f32 v2, v2, 0.5, 1.0
	s_nop 0
	v_cndmask_b32_e32 v3, v5, v4, vcc
	v_mul_f32_e32 v2, v2, v3
	global_store_dword v[0:1], v2, off
	s_endpgm
	.section	.rodata,"a",@progbits
	.p2align	6, 0x0
	.amdhsa_kernel _Z10initializePfS_S_S_S_S_S_Pj
		.amdhsa_group_segment_fixed_size 0
		.amdhsa_private_segment_fixed_size 0
		.amdhsa_kernarg_size 320
		.amdhsa_user_sgpr_count 2
		.amdhsa_user_sgpr_dispatch_ptr 0
		.amdhsa_user_sgpr_queue_ptr 0
		.amdhsa_user_sgpr_kernarg_segment_ptr 1
		.amdhsa_user_sgpr_dispatch_id 0
		.amdhsa_user_sgpr_kernarg_preload_length 0
		.amdhsa_user_sgpr_kernarg_preload_offset 0
		.amdhsa_user_sgpr_private_segment_size 0
		.amdhsa_uses_dynamic_stack 0
		.amdhsa_enable_private_segment 0
		.amdhsa_system_sgpr_workgroup_id_x 1
		.amdhsa_system_sgpr_workgroup_id_y 0
		.amdhsa_system_sgpr_workgroup_id_z 0
		.amdhsa_system_sgpr_workgroup_info 0
		.amdhsa_system_vgpr_workitem_id 0
		.amdhsa_next_free_vgpr 25
		.amdhsa_next_free_sgpr 24
		.amdhsa_accum_offset 28
		.amdhsa_reserve_vcc 1
		.amdhsa_float_round_mode_32 0
		.amdhsa_float_round_mode_16_64 0
		.amdhsa_float_denorm_mode_32 3
		.amdhsa_float_denorm_mode_16_64 3
		.amdhsa_dx10_clamp 1
		.amdhsa_ieee_mode 1
		.amdhsa_fp16_overflow 0
		.amdhsa_tg_split 0
		.amdhsa_exception_fp_ieee_invalid_op 0
		.amdhsa_exception_fp_denorm_src 0
		.amdhsa_exception_fp_ieee_div_zero 0
		.amdhsa_exception_fp_ieee_overflow 0
		.amdhsa_exception_fp_ieee_underflow 0
		.amdhsa_exception_fp_ieee_inexact 0
		.amdhsa_exception_int_div_zero 0
	.end_amdhsa_kernel
	.text
.Lfunc_end3:
	.size	_Z10initializePfS_S_S_S_S_S_Pj, .Lfunc_end3-_Z10initializePfS_S_S_S_S_S_Pj
                                        ; -- End function
	.set _Z10initializePfS_S_S_S_S_S_Pj.num_vgpr, 25
	.set _Z10initializePfS_S_S_S_S_S_Pj.num_agpr, 0
	.set _Z10initializePfS_S_S_S_S_S_Pj.numbered_sgpr, 24
	.set _Z10initializePfS_S_S_S_S_S_Pj.num_named_barrier, 0
	.set _Z10initializePfS_S_S_S_S_S_Pj.private_seg_size, 0
	.set _Z10initializePfS_S_S_S_S_S_Pj.uses_vcc, 1
	.set _Z10initializePfS_S_S_S_S_S_Pj.uses_flat_scratch, 0
	.set _Z10initializePfS_S_S_S_S_S_Pj.has_dyn_sized_stack, 0
	.set _Z10initializePfS_S_S_S_S_S_Pj.has_recursion, 0
	.set _Z10initializePfS_S_S_S_S_S_Pj.has_indirect_call, 0
	.section	.AMDGPU.csdata,"",@progbits
; Kernel info:
; codeLenInByte = 980
; TotalNumSgprs: 30
; NumVgprs: 25
; NumAgprs: 0
; TotalNumVgprs: 25
; ScratchSize: 0
; MemoryBound: 0
; FloatMode: 240
; IeeeMode: 1
; LDSByteSize: 0 bytes/workgroup (compile time only)
; SGPRBlocks: 3
; VGPRBlocks: 3
; NumSGPRsForWavesPerEU: 30
; NumVGPRsForWavesPerEU: 25
; AccumOffset: 28
; Occupancy: 8
; WaveLimiterHint : 0
; COMPUTE_PGM_RSRC2:SCRATCH_EN: 0
; COMPUTE_PGM_RSRC2:USER_SGPR: 2
; COMPUTE_PGM_RSRC2:TRAP_HANDLER: 0
; COMPUTE_PGM_RSRC2:TGID_X_EN: 1
; COMPUTE_PGM_RSRC2:TGID_Y_EN: 0
; COMPUTE_PGM_RSRC2:TGID_Z_EN: 0
; COMPUTE_PGM_RSRC2:TIDIG_COMP_CNT: 0
; COMPUTE_PGM_RSRC3_GFX90A:ACCUM_OFFSET: 6
; COMPUTE_PGM_RSRC3_GFX90A:TG_SPLIT: 0
	.text
	.protected	_Z9propagateiiPfS_S_S_S_S_S_S_Pj ; -- Begin function _Z9propagateiiPfS_S_S_S_S_S_S_Pj
	.globl	_Z9propagateiiPfS_S_S_S_S_S_S_Pj
	.p2align	8
	.type	_Z9propagateiiPfS_S_S_S_S_S_S_Pj,@function
_Z9propagateiiPfS_S_S_S_S_S_S_Pj:       ; @_Z9propagateiiPfS_S_S_S_S_S_S_Pj
; %bb.0:
	s_load_dword s3, s[0:1], 0x5c
	s_load_dwordx8 s[4:11], s[0:1], 0x0
	s_load_dwordx8 s[12:19], s[0:1], 0x20
	s_waitcnt lgkmcnt(0)
	s_and_b32 s3, s3, 0xffff
	s_mul_i32 s2, s2, s3
	v_add_u32_e32 v24, s2, v0
	v_ashrrev_i32_e32 v25, 31, v24
	v_lshlrev_b64 v[20:21], 2, v[24:25]
	v_lshl_add_u64 v[0:1], s[6:7], 0, v[20:21]
	v_lshl_add_u64 v[2:3], s[8:9], 0, v[20:21]
	;; [unrolled: 1-line block ×7, first 2 shown]
	global_load_dword v33, v[0:1], off
	global_load_dword v32, v[2:3], off
	;; [unrolled: 1-line block ×7, first 2 shown]
	s_cmp_lt_i32 s5, 1
	s_cbranch_scc1 .LBB4_9
; %bb.1:
	s_load_dwordx4 s[8:11], s[0:1], 0x40
	v_mad_u64_u32 v[18:19], s[0:1], s4, 3, v[24:25]
	s_ashr_i32 s1, s4, 31
	s_mov_b32 s0, s4
	s_waitcnt lgkmcnt(0)
	v_lshl_add_u64 v[16:17], s[10:11], 0, v[20:21]
	global_load_dword v42, v[16:17], off
	v_lshl_add_u64 v[20:21], s[8:9], 0, v[20:21]
	v_lshl_add_u64 v[22:23], s[0:1], 2, v[20:21]
	s_add_i32 s0, s4, s4
	v_add_u32_e32 v24, s0, v24
	v_ashrrev_i32_e32 v19, 31, v18
	v_ashrrev_i32_e32 v25, 31, v24
	v_lshl_add_u64 v[18:19], v[18:19], 2, s[8:9]
	v_lshl_add_u64 v[24:25], v[24:25], 2, s[8:9]
	s_mov_b32 s3, 0x1984a2d
	s_mov_b32 s4, 0x84ee0be9
	s_brev_b32 s2, 12
	s_mov_b32 s8, 0x28a171f5
	s_mov_b32 s9, 0x6dc9da11
	;; [unrolled: 1-line block ×5, first 2 shown]
	v_mov_b32_e32 v43, 0x260
	s_mov_b32 s13, 0x3fb8aa3b
	s_mov_b32 s14, 0xc2ce8ed0
	;; [unrolled: 1-line block ×3, first 2 shown]
	v_mov_b32_e32 v44, 0x7f800000
	s_mov_b32 s16, 0xf8203345
	v_bfrev_b32_e32 v27, 12
.LBB4_2:                                ; =>This Inner Loop Header: Depth=1
	s_waitcnt vmcnt(0)
	v_mul_lo_u32 v15, v42, s4
	v_mad_u64_u32 v[34:35], s[0:1], v42, s3, 1
	v_add_u32_e32 v15, 0x1984a2e, v15
	v_and_b32_e32 v26, 0x7fffffff, v34
	v_and_b32_e32 v15, 0x7fffffff, v15
	v_cvt_f32_u32_e32 v35, v26
	v_cvt_f32_u32_e32 v34, v15
	v_mul_lo_u32 v15, v42, s8
	v_mul_lo_u32 v26, v42, s9
	v_add_u32_e32 v15, 0x86865617, v15
	v_add_u32_e32 v26, 0xaf27c80c, v26
	v_and_b32_e32 v15, 0x7fffffff, v15
	v_and_b32_e32 v26, 0x7fffffff, v26
	v_cvt_f32_u32_e32 v37, v15
	v_cvt_f32_u32_e32 v36, v26
	v_pk_fma_f32 v[34:35], v[34:35], s[2:3], -0.5 op_sel_hi:[1,0,0]
	v_mul_lo_u32 v15, v42, s10
	v_pk_fma_f32 v[34:35], v[34:35], 2.0, v[32:33] op_sel_hi:[1,0,1]
	v_pk_fma_f32 v[36:37], v[36:37], s[2:3], -0.5 op_sel_hi:[1,0,0]
	v_add_u32_e32 v15, 0x1cf1a21d, v15
	v_pk_fma_f32 v[36:37], v[36:37], 2.0, v[30:31] op_sel_hi:[1,0,1]
	v_mov_b32_e32 v40, v35
	v_mov_b32_e32 v41, v37
	v_mul_lo_u32 v26, v42, s11
	v_and_b32_e32 v15, 0x7fffffff, v15
	v_pk_mul_f32 v[46:47], v[40:41], v[40:41]
	v_add_u32_e32 v26, 0x4d8de11a, v26
	v_cvt_f32_u32_e32 v39, v15
	v_fma_f32 v15, v34, v34, v46
	v_and_b32_e32 v26, 0x7fffffff, v26
	v_add_f32_e32 v15, v15, v47
	v_cvt_f32_u32_e32 v38, v26
	v_mul_f32_e32 v26, 0x4f800000, v15
	v_cmp_gt_f32_e32 vcc, s12, v15
	v_pk_fma_f32 v[38:39], v[38:39], s[2:3], -0.5 op_sel_hi:[1,0,0]
	s_nop 0
	v_cndmask_b32_e32 v15, v15, v26, vcc
	v_sqrt_f32_e32 v26, v15
	v_pk_fma_f32 v[38:39], v[38:39], 2.0, v[28:29] op_sel_hi:[1,0,1]
	v_add_u32_e32 v45, -1, v26
	v_fma_f32 v46, -v45, v26, v15
	v_cmp_ge_f32_e64 s[0:1], 0, v46
	v_add_u32_e32 v46, 1, v26
	s_nop 0
	v_cndmask_b32_e64 v45, v26, v45, s[0:1]
	v_fma_f32 v26, -v46, v26, v15
	v_cmp_lt_f32_e64 s[0:1], 0, v26
	s_nop 1
	v_cndmask_b32_e64 v26, v45, v46, s[0:1]
	v_pk_mul_f32 v[46:47], v[38:39], v[38:39]
	v_mul_f32_e32 v45, 0x37800000, v26
	v_fma_f32 v47, v36, v36, v47
	v_add_f32_e32 v46, v47, v46
	v_mul_f32_e32 v47, 0x4f800000, v46
	v_cmp_gt_f32_e64 s[0:1], s12, v46
	v_cndmask_b32_e32 v26, v26, v45, vcc
	v_cmp_class_f32_e32 vcc, v15, v43
	v_cndmask_b32_e64 v48, v46, v47, s[0:1]
	v_sqrt_f32_e32 v46, v48
	v_cndmask_b32_e32 v45, v26, v15, vcc
	v_mov_b32_e32 v47, v38
	v_add_u32_e32 v15, -1, v46
	v_fma_f32 v26, -v15, v46, v48
	v_cmp_ge_f32_e32 vcc, 0, v26
	v_add_u32_e32 v26, 1, v46
	s_nop 0
	v_cndmask_b32_e32 v15, v46, v15, vcc
	v_fma_f32 v46, -v26, v46, v48
	v_cmp_lt_f32_e32 vcc, 0, v46
	v_mov_b32_e32 v46, v36
	v_pk_add_f32 v[40:41], v[40:41], v[46:47] neg_lo:[0,1] neg_hi:[0,1]
	v_sub_f32_e32 v46, v34, v39
	v_pk_mul_f32 v[40:41], v[40:41], v[40:41]
	v_cndmask_b32_e32 v15, v15, v26, vcc
	v_fma_f32 v40, v46, v46, v40
	v_add_f32_e32 v40, v40, v41
	v_mul_f32_e32 v41, 0x4f800000, v40
	v_cmp_gt_f32_e32 vcc, s12, v40
	v_mul_f32_e32 v26, 0x37800000, v15
	v_cndmask_b32_e64 v15, v15, v26, s[0:1]
	v_cndmask_b32_e32 v40, v40, v41, vcc
	v_sqrt_f32_e32 v41, v40
	v_cmp_class_f32_e64 s[0:1], v48, v43
	s_nop 1
	v_cndmask_b32_e64 v46, v15, v48, s[0:1]
	v_add_u32_e32 v15, -1, v41
	v_fma_f32 v26, -v15, v41, v40
	v_cmp_ge_f32_e64 s[0:1], 0, v26
	v_add_u32_e32 v26, 1, v41
	s_nop 0
	v_cndmask_b32_e64 v15, v41, v15, s[0:1]
	v_fma_f32 v41, -v26, v41, v40
	v_cmp_lt_f32_e64 s[0:1], 0, v41
	s_nop 1
	v_cndmask_b32_e64 v15, v15, v26, s[0:1]
	v_mul_f32_e32 v26, 0x37800000, v15
	v_cndmask_b32_e32 v15, v15, v26, vcc
	v_add_f32_e32 v26, v45, v46
	v_mul_f32_e32 v26, -2.0, v26
	v_mul_f32_e32 v41, 0x3fb8aa3b, v26
	v_fma_f32 v47, v26, s13, -v41
	v_rndne_f32_e32 v48, v41
	v_fmac_f32_e32 v47, 0x32a5705f, v26
	v_sub_f32_e32 v41, v41, v48
	v_add_f32_e32 v41, v41, v47
	v_exp_f32_e32 v41, v41
	v_cvt_i32_f32_e32 v48, v48
	v_cmp_class_f32_e32 vcc, v40, v43
	s_nop 1
	v_cndmask_b32_e32 v47, v15, v40, vcc
	v_ldexp_f32 v15, v41, v48
	v_cmp_ngt_f32_e32 vcc, s14, v26
	v_fma_f32 v40, v47, 0.5, 1.0
	s_nop 0
	v_cndmask_b32_e32 v41, 0, v15, vcc
	v_mul_lo_u32 v15, v42, s16
	v_add_u32_e32 v15, 0x66721593, v15
	v_and_b32_e32 v42, 0x7fffffff, v15
	v_cvt_f32_u32_e32 v15, v42
	v_cmp_nlt_f32_e32 vcc, s15, v26
	s_nop 1
	v_cndmask_b32_e32 v26, v44, v41, vcc
	v_mul_f32_e32 v40, v40, v26
	v_mov_b32_e32 v26, v14
	v_pk_mul_f32 v[48:49], v[14:15], v[26:27]
	s_nop 0
	v_mov_b32_e32 v41, v48
	v_mov_b32_e32 v48, v40
	v_pk_mul_f32 v[48:49], v[40:41], v[48:49]
	s_nop 0
	v_cmp_ngt_f32_e32 vcc, v48, v49
	s_and_saveexec_b64 s[0:1], vcc
	s_xor_b64 s[6:7], exec, s[0:1]
	s_cbranch_execz .LBB4_4
; %bb.3:                                ;   in Loop: Header=BB4_2 Depth=1
	v_pk_mov_b32 v[34:35], v[30:31], v[32:33] op_sel:[1,0]
	v_mov_b32_e32 v39, v29
	v_pk_mul_f32 v[36:37], v[34:35], v[34:35]
	v_pk_add_f32 v[34:35], v[34:35], v[28:29] neg_lo:[0,1] neg_hi:[0,1]
	v_fma_f32 v15, v33, v33, v37
	v_add_f32_e32 v15, v36, v15
	v_mul_f32_e32 v26, 0x4f800000, v15
	v_cmp_gt_f32_e32 vcc, s12, v15
	v_pk_mul_f32 v[34:35], v[34:35], v[34:35]
                                        ; implicit-def: $vgpr40
	s_nop 0
	v_cndmask_b32_e32 v15, v15, v26, vcc
	v_sqrt_f32_e32 v26, v15
	s_nop 0
	v_add_u32_e32 v36, -1, v26
	v_fma_f32 v38, -v36, v26, v15
	v_add_u32_e32 v37, 1, v26
	v_cmp_ge_f32_e64 s[0:1], 0, v38
	s_nop 1
	v_cndmask_b32_e64 v36, v26, v36, s[0:1]
	v_fma_f32 v26, -v37, v26, v15
	v_cmp_lt_f32_e64 s[0:1], 0, v26
	s_nop 1
	v_cndmask_b32_e64 v26, v36, v37, s[0:1]
	v_pk_mul_f32 v[36:37], v[28:29], v[28:29]
	v_mul_f32_e32 v38, 0x37800000, v26
	v_fma_f32 v37, v30, v30, v37
	v_add_f32_e32 v36, v36, v37
	v_mul_f32_e32 v37, 0x4f800000, v36
	v_cmp_gt_f32_e64 s[0:1], s12, v36
	v_cndmask_b32_e32 v26, v26, v38, vcc
	v_cmp_class_f32_e32 vcc, v15, v43
	v_cndmask_b32_e64 v36, v36, v37, s[0:1]
	v_sqrt_f32_e32 v37, v36
	v_cndmask_b32_e32 v45, v26, v15, vcc
	v_mov_b32_e32 v38, v28
	v_add_u32_e32 v15, -1, v37
	v_fma_f32 v26, -v15, v37, v36
	v_cmp_ge_f32_e32 vcc, 0, v26
	v_add_u32_e32 v26, 1, v37
	s_nop 0
	v_cndmask_b32_e32 v15, v37, v15, vcc
	v_fma_f32 v37, -v26, v37, v36
	v_cmp_lt_f32_e32 vcc, 0, v37
	v_sub_f32_e32 v37, v33, v30
	v_fma_f32 v35, v37, v37, v35
	v_add_f32_e32 v34, v34, v35
	v_cndmask_b32_e32 v15, v15, v26, vcc
	v_mul_f32_e32 v35, 0x4f800000, v34
	v_cmp_gt_f32_e32 vcc, s12, v34
	v_mul_f32_e32 v26, 0x37800000, v15
	v_cndmask_b32_e64 v15, v15, v26, s[0:1]
	v_cndmask_b32_e32 v34, v34, v35, vcc
	v_sqrt_f32_e32 v35, v34
	v_cmp_class_f32_e64 s[0:1], v36, v43
	v_mov_b32_e32 v37, v31
	s_nop 0
	v_cndmask_b32_e64 v46, v15, v36, s[0:1]
	v_add_u32_e32 v15, -1, v35
	v_fma_f32 v26, -v15, v35, v34
	v_cmp_ge_f32_e64 s[0:1], 0, v26
	v_add_u32_e32 v26, 1, v35
	v_mov_b32_e32 v36, v30
	v_cndmask_b32_e64 v15, v35, v15, s[0:1]
	v_fma_f32 v35, -v26, v35, v34
	v_cmp_lt_f32_e64 s[0:1], 0, v35
	v_mov_b32_e32 v35, v33
	s_nop 0
	v_cndmask_b32_e64 v15, v15, v26, s[0:1]
	v_mul_f32_e32 v26, 0x37800000, v15
	v_cndmask_b32_e32 v15, v15, v26, vcc
	v_cmp_class_f32_e32 vcc, v34, v43
	s_nop 1
	v_cndmask_b32_e32 v47, v15, v34, vcc
	v_mov_b32_e32 v34, v32
.LBB4_4:                                ;   in Loop: Header=BB4_2 Depth=1
	s_andn2_saveexec_b64 s[0:1], s[6:7]
	s_cbranch_execz .LBB4_6
; %bb.5:                                ;   in Loop: Header=BB4_2 Depth=1
	global_load_dword v14, v[18:19], off
	s_waitcnt vmcnt(0)
	v_add_f32_e32 v14, 1.0, v14
	global_store_dword v[18:19], v14, off
	v_mov_b32_e32 v14, v40
.LBB4_6:                                ;   in Loop: Header=BB4_2 Depth=1
	s_or_b64 exec, exec, s[0:1]
	global_load_dword v15, v[20:21], off
	s_add_i32 s5, s5, -1
	s_cmp_eq_u32 s5, 0
	s_waitcnt vmcnt(0)
	v_add_f32_e32 v15, v15, v45
	global_store_dword v[20:21], v15, off
	global_load_dword v15, v[22:23], off
	s_waitcnt vmcnt(0)
	v_add_f32_e32 v15, v46, v15
	global_store_dword v[22:23], v15, off
	global_load_dword v15, v[24:25], off
	s_waitcnt vmcnt(0)
	v_add_f32_e32 v15, v15, v47
	global_store_dword v[24:25], v15, off
	s_cbranch_scc1 .LBB4_8
; %bb.7:                                ;   in Loop: Header=BB4_2 Depth=1
	v_mov_b32_e32 v28, v38
	v_mov_b32_e32 v29, v39
	;; [unrolled: 1-line block ×6, first 2 shown]
	s_branch .LBB4_2
.LBB4_8:
	global_store_dword v[16:17], v42, off
	s_branch .LBB4_10
.LBB4_9:
	s_waitcnt vmcnt(6)
	v_mov_b32_e32 v35, v33
	s_waitcnt vmcnt(5)
	v_mov_b32_e32 v34, v32
	;; [unrolled: 2-line block ×6, first 2 shown]
.LBB4_10:
	global_store_dword v[0:1], v35, off
	global_store_dword v[2:3], v34, off
	;; [unrolled: 1-line block ×6, first 2 shown]
	s_waitcnt vmcnt(6)
	global_store_dword v[12:13], v14, off
	s_endpgm
	.section	.rodata,"a",@progbits
	.p2align	6, 0x0
	.amdhsa_kernel _Z9propagateiiPfS_S_S_S_S_S_S_Pj
		.amdhsa_group_segment_fixed_size 0
		.amdhsa_private_segment_fixed_size 0
		.amdhsa_kernarg_size 336
		.amdhsa_user_sgpr_count 2
		.amdhsa_user_sgpr_dispatch_ptr 0
		.amdhsa_user_sgpr_queue_ptr 0
		.amdhsa_user_sgpr_kernarg_segment_ptr 1
		.amdhsa_user_sgpr_dispatch_id 0
		.amdhsa_user_sgpr_kernarg_preload_length 0
		.amdhsa_user_sgpr_kernarg_preload_offset 0
		.amdhsa_user_sgpr_private_segment_size 0
		.amdhsa_uses_dynamic_stack 0
		.amdhsa_enable_private_segment 0
		.amdhsa_system_sgpr_workgroup_id_x 1
		.amdhsa_system_sgpr_workgroup_id_y 0
		.amdhsa_system_sgpr_workgroup_id_z 0
		.amdhsa_system_sgpr_workgroup_info 0
		.amdhsa_system_vgpr_workitem_id 0
		.amdhsa_next_free_vgpr 50
		.amdhsa_next_free_sgpr 20
		.amdhsa_accum_offset 52
		.amdhsa_reserve_vcc 1
		.amdhsa_float_round_mode_32 0
		.amdhsa_float_round_mode_16_64 0
		.amdhsa_float_denorm_mode_32 3
		.amdhsa_float_denorm_mode_16_64 3
		.amdhsa_dx10_clamp 1
		.amdhsa_ieee_mode 1
		.amdhsa_fp16_overflow 0
		.amdhsa_tg_split 0
		.amdhsa_exception_fp_ieee_invalid_op 0
		.amdhsa_exception_fp_denorm_src 0
		.amdhsa_exception_fp_ieee_div_zero 0
		.amdhsa_exception_fp_ieee_overflow 0
		.amdhsa_exception_fp_ieee_underflow 0
		.amdhsa_exception_fp_ieee_inexact 0
		.amdhsa_exception_int_div_zero 0
	.end_amdhsa_kernel
	.text
.Lfunc_end4:
	.size	_Z9propagateiiPfS_S_S_S_S_S_S_Pj, .Lfunc_end4-_Z9propagateiiPfS_S_S_S_S_S_S_Pj
                                        ; -- End function
	.set _Z9propagateiiPfS_S_S_S_S_S_S_Pj.num_vgpr, 50
	.set _Z9propagateiiPfS_S_S_S_S_S_S_Pj.num_agpr, 0
	.set _Z9propagateiiPfS_S_S_S_S_S_S_Pj.numbered_sgpr, 20
	.set _Z9propagateiiPfS_S_S_S_S_S_S_Pj.num_named_barrier, 0
	.set _Z9propagateiiPfS_S_S_S_S_S_S_Pj.private_seg_size, 0
	.set _Z9propagateiiPfS_S_S_S_S_S_S_Pj.uses_vcc, 1
	.set _Z9propagateiiPfS_S_S_S_S_S_S_Pj.uses_flat_scratch, 0
	.set _Z9propagateiiPfS_S_S_S_S_S_S_Pj.has_dyn_sized_stack, 0
	.set _Z9propagateiiPfS_S_S_S_S_S_S_Pj.has_recursion, 0
	.set _Z9propagateiiPfS_S_S_S_S_S_S_Pj.has_indirect_call, 0
	.section	.AMDGPU.csdata,"",@progbits
; Kernel info:
; codeLenInByte = 1884
; TotalNumSgprs: 26
; NumVgprs: 50
; NumAgprs: 0
; TotalNumVgprs: 50
; ScratchSize: 0
; MemoryBound: 0
; FloatMode: 240
; IeeeMode: 1
; LDSByteSize: 0 bytes/workgroup (compile time only)
; SGPRBlocks: 3
; VGPRBlocks: 6
; NumSGPRsForWavesPerEU: 26
; NumVGPRsForWavesPerEU: 50
; AccumOffset: 52
; Occupancy: 8
; WaveLimiterHint : 0
; COMPUTE_PGM_RSRC2:SCRATCH_EN: 0
; COMPUTE_PGM_RSRC2:USER_SGPR: 2
; COMPUTE_PGM_RSRC2:TRAP_HANDLER: 0
; COMPUTE_PGM_RSRC2:TGID_X_EN: 1
; COMPUTE_PGM_RSRC2:TGID_Y_EN: 0
; COMPUTE_PGM_RSRC2:TGID_Z_EN: 0
; COMPUTE_PGM_RSRC2:TIDIG_COMP_CNT: 0
; COMPUTE_PGM_RSRC3_GFX90A:ACCUM_OFFSET: 12
; COMPUTE_PGM_RSRC3_GFX90A:TG_SPLIT: 0
	.text
	.p2alignl 6, 3212836864
	.fill 256, 4, 3212836864
	.section	.AMDGPU.gpr_maximums,"",@progbits
	.set amdgpu.max_num_vgpr, 0
	.set amdgpu.max_num_agpr, 0
	.set amdgpu.max_num_sgpr, 0
	.text
	.type	__hip_cuid_122edd76af5ad325,@object ; @__hip_cuid_122edd76af5ad325
	.section	.bss,"aw",@nobits
	.globl	__hip_cuid_122edd76af5ad325
__hip_cuid_122edd76af5ad325:
	.byte	0                               ; 0x0
	.size	__hip_cuid_122edd76af5ad325, 1

	.ident	"AMD clang version 22.0.0git (https://github.com/RadeonOpenCompute/llvm-project roc-7.2.4 26084 f58b06dce1f9c15707c5f808fd002e18c2accf7e)"
	.section	".note.GNU-stack","",@progbits
	.addrsig
	.addrsig_sym __hip_cuid_122edd76af5ad325
	.amdgpu_metadata
---
amdhsa.kernels:
  - .agpr_count:     0
    .args:
      - .offset:         0
        .size:           4
        .value_kind:     by_value
      - .address_space:  global
        .offset:         8
        .size:           8
        .value_kind:     global_buffer
      - .address_space:  global
        .offset:         16
        .size:           8
        .value_kind:     global_buffer
      - .offset:         24
        .size:           4
        .value_kind:     hidden_block_count_x
      - .offset:         28
        .size:           4
        .value_kind:     hidden_block_count_y
      - .offset:         32
        .size:           4
        .value_kind:     hidden_block_count_z
      - .offset:         36
        .size:           2
        .value_kind:     hidden_group_size_x
      - .offset:         38
        .size:           2
        .value_kind:     hidden_group_size_y
      - .offset:         40
        .size:           2
        .value_kind:     hidden_group_size_z
      - .offset:         42
        .size:           2
        .value_kind:     hidden_remainder_x
      - .offset:         44
        .size:           2
        .value_kind:     hidden_remainder_y
      - .offset:         46
        .size:           2
        .value_kind:     hidden_remainder_z
      - .offset:         64
        .size:           8
        .value_kind:     hidden_global_offset_x
      - .offset:         72
        .size:           8
        .value_kind:     hidden_global_offset_y
      - .offset:         80
        .size:           8
        .value_kind:     hidden_global_offset_z
      - .offset:         88
        .size:           2
        .value_kind:     hidden_grid_dims
    .group_segment_fixed_size: 2048
    .kernarg_segment_align: 8
    .kernarg_segment_size: 280
    .language:       OpenCL C
    .language_version:
      - 2
      - 0
    .max_flat_workgroup_size: 1024
    .name:           _Z15SumWithinBlocksiPKfPf
    .private_segment_fixed_size: 0
    .sgpr_count:     19
    .sgpr_spill_count: 0
    .symbol:         _Z15SumWithinBlocksiPKfPf.kd
    .uniform_work_group_size: 1
    .uses_dynamic_stack: false
    .vgpr_count:     6
    .vgpr_spill_count: 0
    .wavefront_size: 64
  - .agpr_count:     0
    .args:
      - .offset:         0
        .size:           4
        .value_kind:     by_value
      - .address_space:  global
        .offset:         8
        .size:           8
        .value_kind:     global_buffer
      - .offset:         16
        .size:           4
        .value_kind:     hidden_block_count_x
      - .offset:         20
        .size:           4
        .value_kind:     hidden_block_count_y
      - .offset:         24
        .size:           4
        .value_kind:     hidden_block_count_z
      - .offset:         28
        .size:           2
        .value_kind:     hidden_group_size_x
      - .offset:         30
        .size:           2
        .value_kind:     hidden_group_size_y
      - .offset:         32
        .size:           2
        .value_kind:     hidden_group_size_z
      - .offset:         34
        .size:           2
        .value_kind:     hidden_remainder_x
      - .offset:         36
        .size:           2
        .value_kind:     hidden_remainder_y
      - .offset:         38
        .size:           2
        .value_kind:     hidden_remainder_z
      - .offset:         56
        .size:           8
        .value_kind:     hidden_global_offset_x
      - .offset:         64
        .size:           8
        .value_kind:     hidden_global_offset_y
      - .offset:         72
        .size:           8
        .value_kind:     hidden_global_offset_z
      - .offset:         80
        .size:           2
        .value_kind:     hidden_grid_dims
    .group_segment_fixed_size: 0
    .kernarg_segment_align: 8
    .kernarg_segment_size: 272
    .language:       OpenCL C
    .language_version:
      - 2
      - 0
    .max_flat_workgroup_size: 1024
    .name:           _Z7initranjPj
    .private_segment_fixed_size: 0
    .sgpr_count:     13
    .sgpr_spill_count: 0
    .symbol:         _Z7initranjPj.kd
    .uniform_work_group_size: 1
    .uses_dynamic_stack: false
    .vgpr_count:     4
    .vgpr_spill_count: 0
    .wavefront_size: 64
  - .agpr_count:     0
    .args:
      - .offset:         0
        .size:           4
        .value_kind:     by_value
      - .address_space:  global
        .offset:         8
        .size:           8
        .value_kind:     global_buffer
      - .offset:         16
        .size:           4
        .value_kind:     hidden_block_count_x
      - .offset:         20
        .size:           4
        .value_kind:     hidden_block_count_y
      - .offset:         24
        .size:           4
        .value_kind:     hidden_block_count_z
      - .offset:         28
        .size:           2
        .value_kind:     hidden_group_size_x
      - .offset:         30
        .size:           2
        .value_kind:     hidden_group_size_y
      - .offset:         32
        .size:           2
        .value_kind:     hidden_group_size_z
      - .offset:         34
        .size:           2
        .value_kind:     hidden_remainder_x
      - .offset:         36
        .size:           2
        .value_kind:     hidden_remainder_y
      - .offset:         38
        .size:           2
        .value_kind:     hidden_remainder_z
      - .offset:         56
        .size:           8
        .value_kind:     hidden_global_offset_x
      - .offset:         64
        .size:           8
        .value_kind:     hidden_global_offset_y
      - .offset:         72
        .size:           8
        .value_kind:     hidden_global_offset_z
      - .offset:         80
        .size:           2
        .value_kind:     hidden_grid_dims
    .group_segment_fixed_size: 0
    .kernarg_segment_align: 8
    .kernarg_segment_size: 272
    .language:       OpenCL C
    .language_version:
      - 2
      - 0
    .max_flat_workgroup_size: 1024
    .name:           _Z10zero_statsiPf
    .private_segment_fixed_size: 0
    .sgpr_count:     14
    .sgpr_spill_count: 0
    .symbol:         _Z10zero_statsiPf.kd
    .uniform_work_group_size: 1
    .uses_dynamic_stack: false
    .vgpr_count:     5
    .vgpr_spill_count: 0
    .wavefront_size: 64
  - .agpr_count:     0
    .args:
      - .actual_access:  write_only
        .address_space:  global
        .offset:         0
        .size:           8
        .value_kind:     global_buffer
      - .actual_access:  write_only
        .address_space:  global
        .offset:         8
        .size:           8
        .value_kind:     global_buffer
      - .actual_access:  write_only
        .address_space:  global
        .offset:         16
        .size:           8
        .value_kind:     global_buffer
      - .actual_access:  write_only
        .address_space:  global
        .offset:         24
        .size:           8
        .value_kind:     global_buffer
      - .actual_access:  write_only
        .address_space:  global
        .offset:         32
        .size:           8
        .value_kind:     global_buffer
      - .actual_access:  write_only
        .address_space:  global
        .offset:         40
        .size:           8
        .value_kind:     global_buffer
      - .actual_access:  write_only
        .address_space:  global
        .offset:         48
        .size:           8
        .value_kind:     global_buffer
      - .address_space:  global
        .offset:         56
        .size:           8
        .value_kind:     global_buffer
      - .offset:         64
        .size:           4
        .value_kind:     hidden_block_count_x
      - .offset:         68
        .size:           4
        .value_kind:     hidden_block_count_y
      - .offset:         72
        .size:           4
        .value_kind:     hidden_block_count_z
      - .offset:         76
        .size:           2
        .value_kind:     hidden_group_size_x
      - .offset:         78
        .size:           2
        .value_kind:     hidden_group_size_y
      - .offset:         80
        .size:           2
        .value_kind:     hidden_group_size_z
      - .offset:         82
        .size:           2
        .value_kind:     hidden_remainder_x
      - .offset:         84
        .size:           2
        .value_kind:     hidden_remainder_y
      - .offset:         86
        .size:           2
        .value_kind:     hidden_remainder_z
      - .offset:         104
        .size:           8
        .value_kind:     hidden_global_offset_x
      - .offset:         112
        .size:           8
        .value_kind:     hidden_global_offset_y
      - .offset:         120
        .size:           8
        .value_kind:     hidden_global_offset_z
      - .offset:         128
        .size:           2
        .value_kind:     hidden_grid_dims
    .group_segment_fixed_size: 0
    .kernarg_segment_align: 8
    .kernarg_segment_size: 320
    .language:       OpenCL C
    .language_version:
      - 2
      - 0
    .max_flat_workgroup_size: 1024
    .name:           _Z10initializePfS_S_S_S_S_S_Pj
    .private_segment_fixed_size: 0
    .sgpr_count:     30
    .sgpr_spill_count: 0
    .symbol:         _Z10initializePfS_S_S_S_S_S_Pj.kd
    .uniform_work_group_size: 1
    .uses_dynamic_stack: false
    .vgpr_count:     25
    .vgpr_spill_count: 0
    .wavefront_size: 64
  - .agpr_count:     0
    .args:
      - .offset:         0
        .size:           4
        .value_kind:     by_value
      - .offset:         4
        .size:           4
        .value_kind:     by_value
      - .address_space:  global
        .offset:         8
        .size:           8
        .value_kind:     global_buffer
      - .address_space:  global
        .offset:         16
        .size:           8
        .value_kind:     global_buffer
      - .address_space:  global
        .offset:         24
        .size:           8
        .value_kind:     global_buffer
      - .address_space:  global
        .offset:         32
        .size:           8
        .value_kind:     global_buffer
      - .address_space:  global
        .offset:         40
        .size:           8
        .value_kind:     global_buffer
      - .address_space:  global
        .offset:         48
        .size:           8
        .value_kind:     global_buffer
      - .address_space:  global
        .offset:         56
        .size:           8
        .value_kind:     global_buffer
      - .address_space:  global
        .offset:         64
        .size:           8
        .value_kind:     global_buffer
      - .address_space:  global
        .offset:         72
        .size:           8
        .value_kind:     global_buffer
      - .offset:         80
        .size:           4
        .value_kind:     hidden_block_count_x
      - .offset:         84
        .size:           4
        .value_kind:     hidden_block_count_y
      - .offset:         88
        .size:           4
        .value_kind:     hidden_block_count_z
      - .offset:         92
        .size:           2
        .value_kind:     hidden_group_size_x
      - .offset:         94
        .size:           2
        .value_kind:     hidden_group_size_y
      - .offset:         96
        .size:           2
        .value_kind:     hidden_group_size_z
      - .offset:         98
        .size:           2
        .value_kind:     hidden_remainder_x
      - .offset:         100
        .size:           2
        .value_kind:     hidden_remainder_y
      - .offset:         102
        .size:           2
        .value_kind:     hidden_remainder_z
      - .offset:         120
        .size:           8
        .value_kind:     hidden_global_offset_x
      - .offset:         128
        .size:           8
        .value_kind:     hidden_global_offset_y
      - .offset:         136
        .size:           8
        .value_kind:     hidden_global_offset_z
      - .offset:         144
        .size:           2
        .value_kind:     hidden_grid_dims
    .group_segment_fixed_size: 0
    .kernarg_segment_align: 8
    .kernarg_segment_size: 336
    .language:       OpenCL C
    .language_version:
      - 2
      - 0
    .max_flat_workgroup_size: 1024
    .name:           _Z9propagateiiPfS_S_S_S_S_S_S_Pj
    .private_segment_fixed_size: 0
    .sgpr_count:     26
    .sgpr_spill_count: 0
    .symbol:         _Z9propagateiiPfS_S_S_S_S_S_S_Pj.kd
    .uniform_work_group_size: 1
    .uses_dynamic_stack: false
    .vgpr_count:     50
    .vgpr_spill_count: 0
    .wavefront_size: 64
amdhsa.target:   amdgcn-amd-amdhsa--gfx950
amdhsa.version:
  - 1
  - 2
...

	.end_amdgpu_metadata
